;; amdgpu-corpus repo=zjin-lcf/HeCBench kind=compiled arch=gfx906 opt=O3
	.amdgcn_target "amdgcn-amd-amdhsa--gfx906"
	.amdhsa_code_object_version 6
	.text
	.protected	_Z17compute_biclusterPKfiiifPcS1_PfPiS3_S1_S1_ ; -- Begin function _Z17compute_biclusterPKfiiifPcS1_PfPiS3_S1_S1_
	.globl	_Z17compute_biclusterPKfiiifPcS1_PfPiS3_S1_S1_
	.p2align	8
	.type	_Z17compute_biclusterPKfiiifPcS1_PfPiS3_S1_S1_,@function
_Z17compute_biclusterPKfiiifPcS1_PfPiS3_S1_S1_: ; @_Z17compute_biclusterPKfiiifPcS1_PfPiS3_S1_S1_
; %bb.0:
	s_load_dword s0, s[4:5], 0x5c
	s_load_dwordx4 s[8:11], s[4:5], 0x8
	s_waitcnt lgkmcnt(0)
	s_and_b32 s0, s0, 0xffff
	s_mul_i32 s6, s6, s0
	v_add_u32_e32 v0, s6, v0
	v_cmp_gt_i32_e32 vcc, s9, v0
	s_and_saveexec_b64 s[0:1], vcc
	s_cbranch_execz .LBB0_145
; %bb.1:
	s_load_dwordx4 s[0:3], s[4:5], 0x28
	v_ashrrev_i32_e32 v1, 31, v0
	v_lshlrev_b64 v[9:10], 2, v[0:1]
	v_mov_b32_e32 v3, 1.0
	v_add_u32_e32 v32, 1, v0
	s_waitcnt lgkmcnt(0)
	v_mov_b32_e32 v2, s1
	v_add_co_u32_e32 v1, vcc, s0, v9
	v_addc_co_u32_e32 v2, vcc, v2, v10, vcc
	global_store_dword v[1:2], v3, off
	v_mov_b32_e32 v4, s3
	v_add_co_u32_e32 v3, vcc, s2, v9
	v_addc_co_u32_e32 v4, vcc, v4, v10, vcc
	v_mov_b32_e32 v30, 0
	v_cmp_gt_i32_e32 vcc, s8, v32
	global_store_dword v[3:4], v30, off
	s_and_b64 exec, exec, vcc
	s_cbranch_execz .LBB0_145
; %bb.2:
	s_add_i32 s9, s10, 1
	v_mul_lo_u32 v5, v0, s9
	s_load_dwordx2 s[6:7], s[4:5], 0x48
	s_load_dwordx4 s[12:15], s[4:5], 0x38
	s_load_dwordx2 s[16:17], s[4:5], 0x0
	s_load_dwordx4 s[0:3], s[4:5], 0x18
	v_mul_lo_u32 v34, v0, s8
	s_waitcnt lgkmcnt(0)
	v_mov_b32_e32 v11, s7
	v_add_u32_e32 v6, s10, v5
	v_ashrrev_i32_e32 v7, 31, v6
	v_lshlrev_b64 v[6:7], 2, v[6:7]
	v_mov_b32_e32 v8, s17
	v_add_co_u32_e32 v6, vcc, s16, v6
	v_addc_co_u32_e32 v7, vcc, v8, v7, vcc
	global_load_dword v33, v[6:7], off
	v_add_u32_e32 v6, v34, v0
	v_ashrrev_i32_e32 v8, 31, v6
	v_add_co_u32_e32 v7, vcc, s6, v6
	v_addc_co_u32_e32 v8, vcc, v11, v8, vcc
	v_mov_b32_e32 v6, s13
	v_add_co_u32_e32 v9, vcc, s12, v9
	v_addc_co_u32_e32 v10, vcc, v6, v10, vcc
	v_ashrrev_i32_e32 v6, 31, v5
	s_cmp_gt_i32 s10, 0
	v_lshlrev_b64 v[11:12], 2, v[5:6]
	s_cselect_b64 s[18:19], -1, 0
	s_cmp_gt_i32 s8, 0
	v_mul_lo_u32 v21, v0, s10
	s_cselect_b64 s[20:21], -1, 0
	s_cmp_lt_i32 s8, 1
	v_mov_b32_e32 v6, s17
	v_add_co_u32_e32 v11, vcc, s16, v11
	s_cselect_b64 s[22:23], -1, 0
	s_cmp_lg_u32 s10, 1
	v_addc_co_u32_e32 v12, vcc, v6, v12, vcc
	s_cselect_b64 s[12:13], -1, 0
	s_and_b32 s33, s10, 0x7ffffffe
	v_add_co_u32_e32 v13, vcc, 4, v11
	s_bitcmp1_b32 s10, 0
	v_addc_co_u32_e32 v14, vcc, 0, v12, vcc
	s_cselect_b64 s[24:25], -1, 0
	s_cmp_gt_u32 s10, 3
	v_ashrrev_i32_e32 v6, 31, v21
	v_mov_b32_e32 v16, s15
	v_add_co_u32_e32 v15, vcc, s14, v21
	s_cselect_b64 s[26:27], -1, 0
	s_and_b32 s54, s10, 0x7ffffffc
	v_addc_co_u32_e32 v16, vcc, v16, v6, vcc
	s_cmp_lg_u32 s10, s54
	v_ashrrev_i32_e32 v20, 31, v34
	v_mov_b32_e32 v18, s7
	v_add_co_u32_e32 v17, vcc, s6, v34
	s_cselect_b64 s[28:29], -1, 0
	s_cmp_gt_u32 s8, 3
	v_addc_co_u32_e32 v18, vcc, v18, v20, vcc
	s_cselect_b64 s[30:31], -1, 0
	s_and_b32 s55, s8, 0x7ffffffc
	v_mov_b32_e32 v22, s3
	v_add_co_u32_e32 v19, vcc, s2, v34
	s_cmp_lg_u32 s8, s55
	v_addc_co_u32_e32 v20, vcc, v22, v20, vcc
	s_cselect_b64 s[34:35], -1, 0
	s_add_u32 s56, s16, 4
	v_mov_b32_e32 v22, s1
	v_add_co_u32_e32 v21, vcc, s0, v21
	s_mov_b32 s5, 0
	s_addc_u32 s57, s17, 0
	v_addc_co_u32_e32 v22, vcc, v22, v6, vcc
	s_mov_b64 s[14:15], 0
	v_mov_b32_e32 v6, 49
	v_mov_b32_e32 v35, 48
	s_mov_b32 s58, 0xf800000
	v_mul_lo_u32 v23, v32, s9
	v_mov_b32_e32 v36, 0x260
	v_mov_b32_e32 v37, 0x30303030
	s_mov_b32 s59, 0x3c23d70a
                                        ; implicit-def: $vgpr38
	s_branch .LBB0_4
.LBB0_3:                                ;   in Loop: Header=BB0_4 Depth=1
	v_add_u32_e32 v32, 1, v32
	v_cmp_le_i32_e32 vcc, s8, v32
	s_or_b64 s[14:15], vcc, s[14:15]
	v_add_u32_e32 v23, s9, v23
	s_andn2_b64 exec, exec, s[14:15]
	s_cbranch_execz .LBB0_145
.LBB0_4:                                ; =>This Loop Header: Depth=1
                                        ;     Child Loop BB0_9 Depth 2
                                        ;     Child Loop BB0_48 Depth 2
                                        ;       Child Loop BB0_57 Depth 3
                                        ;       Child Loop BB0_61 Depth 3
	;; [unrolled: 1-line block ×9, first 2 shown]
                                        ;         Child Loop BB0_99 Depth 4
                                        ;           Child Loop BB0_102 Depth 5
                                        ;           Child Loop BB0_106 Depth 5
	;; [unrolled: 1-line block ×4, first 2 shown]
                                        ;       Child Loop BB0_133 Depth 3
                                        ;       Child Loop BB0_137 Depth 3
	;; [unrolled: 1-line block ×4, first 2 shown]
	v_ashrrev_i32_e32 v24, 31, v23
	v_lshlrev_b64 v[24:25], 2, v[23:24]
	v_cndmask_b32_e64 v26, 0, 1, s[18:19]
	v_cmp_ne_u32_e64 s[0:1], 1, v26
	s_andn2_b64 vcc, exec, s[18:19]
	s_cbranch_vccnz .LBB0_28
; %bb.5:                                ;   in Loop: Header=BB0_4 Depth=1
	v_mul_lo_u32 v42, v32, s9
	v_mov_b32_e32 v28, s17
	v_add_u32_e32 v26, s10, v42
	v_ashrrev_i32_e32 v27, 31, v26
	v_lshlrev_b64 v[26:27], 2, v[26:27]
	v_add_co_u32_e32 v26, vcc, s16, v26
	v_addc_co_u32_e32 v27, vcc, v28, v27, vcc
	global_load_dword v31, v[26:27], off
	s_andn2_b64 vcc, exec, s[12:13]
	s_cbranch_vccnz .LBB0_29
; %bb.6:                                ;   in Loop: Header=BB0_4 Depth=1
	v_mov_b32_e32 v27, s57
	v_add_co_u32_e32 v26, vcc, s56, v24
	v_mov_b32_e32 v29, v14
	v_addc_co_u32_e32 v27, vcc, v27, v25, vcc
	s_mov_b32 s4, 0
	v_mov_b32_e32 v39, 0
	v_mov_b32_e32 v41, 0
	;; [unrolled: 1-line block ×4, first 2 shown]
	s_branch .LBB0_9
.LBB0_7:                                ;   in Loop: Header=BB0_9 Depth=2
	s_or_b64 exec, exec, s[2:3]
.LBB0_8:                                ;   in Loop: Header=BB0_9 Depth=2
	s_or_b64 exec, exec, s[36:37]
	v_add_co_u32_e32 v26, vcc, 8, v26
	v_addc_co_u32_e32 v27, vcc, 0, v27, vcc
	s_add_i32 s4, s4, 2
	v_add_co_u32_e32 v28, vcc, 8, v28
	s_cmp_eq_u32 s33, s4
	v_addc_co_u32_e32 v29, vcc, 0, v29, vcc
	s_cbranch_scc1 .LBB0_30
.LBB0_9:                                ;   Parent Loop BB0_4 Depth=1
                                        ; =>  This Inner Loop Header: Depth=2
	global_load_dword v43, v[28:29], off offset:-4
	global_load_dword v45, v[26:27], off offset:-4
	s_waitcnt vmcnt(1)
	v_sub_f32_e32 v43, v43, v33
	s_waitcnt vmcnt(0)
	v_sub_f32_e32 v44, v45, v31
	v_cmp_le_f32_e32 vcc, 0, v43
	v_cmp_le_f32_e64 s[2:3], 0, v44
	s_and_b64 s[2:3], vcc, s[2:3]
	s_and_saveexec_b64 s[36:37], s[2:3]
	s_xor_b64 s[2:3], exec, s[36:37]
	s_cbranch_execz .LBB0_11
; %bb.10:                               ;   in Loop: Header=BB0_9 Depth=2
	v_mov_b32_e32 v43, s4
	v_add_u32_e32 v39, 1, v39
	ds_write_b8 v43, v6 offset:1600
	ds_write_b8 v43, v35 offset:1603
	;; [unrolled: 1-line block ×3, first 2 shown]
                                        ; implicit-def: $vgpr43
                                        ; implicit-def: $vgpr45
                                        ; implicit-def: $vgpr44
.LBB0_11:                               ;   in Loop: Header=BB0_9 Depth=2
	s_andn2_saveexec_b64 s[36:37], s[2:3]
	s_cbranch_execz .LBB0_19
; %bb.12:                               ;   in Loop: Header=BB0_9 Depth=2
	v_cmp_ngt_f32_e32 vcc, 0, v43
	v_cmp_nlt_f32_e64 s[2:3], v45, v31
	s_or_b64 s[2:3], vcc, s[2:3]
	s_and_saveexec_b64 s[38:39], s[2:3]
	s_xor_b64 s[2:3], exec, s[38:39]
	s_cbranch_execz .LBB0_16
; %bb.13:                               ;   in Loop: Header=BB0_9 Depth=2
	v_mul_f32_e32 v43, v43, v44
	v_cmp_gt_f32_e32 vcc, 0, v43
	s_and_saveexec_b64 s[38:39], vcc
	s_cbranch_execz .LBB0_15
; %bb.14:                               ;   in Loop: Header=BB0_9 Depth=2
	v_add_u32_e32 v41, 1, v41
	v_mov_b32_e32 v43, s4
	ds_write_b8 v43, v35 offset:1600
	ds_write_b8 v43, v35 offset:1603
	;; [unrolled: 1-line block ×3, first 2 shown]
.LBB0_15:                               ;   in Loop: Header=BB0_9 Depth=2
	s_or_b64 exec, exec, s[38:39]
.LBB0_16:                               ;   in Loop: Header=BB0_9 Depth=2
	s_andn2_saveexec_b64 s[2:3], s[2:3]
	s_cbranch_execz .LBB0_18
; %bb.17:                               ;   in Loop: Header=BB0_9 Depth=2
	v_mov_b32_e32 v43, s4
	v_add_u32_e32 v40, 1, v40
	ds_write_b8 v43, v35 offset:1600
	ds_write_b8 v43, v6 offset:1603
	ds_write_b8 v43, v35 offset:1606
.LBB0_18:                               ;   in Loop: Header=BB0_9 Depth=2
	s_or_b64 exec, exec, s[2:3]
.LBB0_19:                               ;   in Loop: Header=BB0_9 Depth=2
	s_or_b64 exec, exec, s[36:37]
	global_load_dword v43, v[28:29], off
	global_load_dword v45, v[26:27], off
	s_waitcnt vmcnt(1)
	v_sub_f32_e32 v43, v43, v33
	s_waitcnt vmcnt(0)
	v_sub_f32_e32 v44, v45, v31
	v_cmp_le_f32_e32 vcc, 0, v43
	v_cmp_le_f32_e64 s[2:3], 0, v44
	s_and_b64 s[2:3], vcc, s[2:3]
	s_and_saveexec_b64 s[36:37], s[2:3]
	s_xor_b64 s[2:3], exec, s[36:37]
	s_cbranch_execz .LBB0_21
; %bb.20:                               ;   in Loop: Header=BB0_9 Depth=2
	v_mov_b32_e32 v43, s4
	v_add_u32_e32 v39, 1, v39
	ds_write_b8 v43, v6 offset:1601
	ds_write_b8 v43, v35 offset:1604
	;; [unrolled: 1-line block ×3, first 2 shown]
                                        ; implicit-def: $vgpr43
                                        ; implicit-def: $vgpr45
                                        ; implicit-def: $vgpr44
.LBB0_21:                               ;   in Loop: Header=BB0_9 Depth=2
	s_andn2_saveexec_b64 s[36:37], s[2:3]
	s_cbranch_execz .LBB0_8
; %bb.22:                               ;   in Loop: Header=BB0_9 Depth=2
	v_cmp_ngt_f32_e32 vcc, 0, v43
	v_cmp_nlt_f32_e64 s[2:3], v45, v31
	s_or_b64 s[2:3], vcc, s[2:3]
	s_and_saveexec_b64 s[38:39], s[2:3]
	s_xor_b64 s[2:3], exec, s[38:39]
	s_cbranch_execz .LBB0_26
; %bb.23:                               ;   in Loop: Header=BB0_9 Depth=2
	v_mul_f32_e32 v43, v43, v44
	v_cmp_gt_f32_e32 vcc, 0, v43
	s_and_saveexec_b64 s[38:39], vcc
	s_cbranch_execz .LBB0_25
; %bb.24:                               ;   in Loop: Header=BB0_9 Depth=2
	v_add_u32_e32 v41, 1, v41
	v_mov_b32_e32 v43, s4
	ds_write_b8 v43, v35 offset:1601
	ds_write_b8 v43, v35 offset:1604
	;; [unrolled: 1-line block ×3, first 2 shown]
.LBB0_25:                               ;   in Loop: Header=BB0_9 Depth=2
	s_or_b64 exec, exec, s[38:39]
.LBB0_26:                               ;   in Loop: Header=BB0_9 Depth=2
	s_andn2_saveexec_b64 s[2:3], s[2:3]
	s_cbranch_execz .LBB0_7
; %bb.27:                               ;   in Loop: Header=BB0_9 Depth=2
	v_mov_b32_e32 v43, s4
	v_add_u32_e32 v40, 1, v40
	ds_write_b8 v43, v35 offset:1601
	ds_write_b8 v43, v6 offset:1604
	;; [unrolled: 1-line block ×3, first 2 shown]
	s_branch .LBB0_7
.LBB0_28:                               ;   in Loop: Header=BB0_4 Depth=1
	v_mov_b32_e32 v39, 0
	v_mov_b32_e32 v41, 0
	;; [unrolled: 1-line block ×3, first 2 shown]
	s_branch .LBB0_42
.LBB0_29:                               ;   in Loop: Header=BB0_4 Depth=1
	v_mov_b32_e32 v40, 0
	s_mov_b32 s4, 0
	v_mov_b32_e32 v41, 0
	v_mov_b32_e32 v39, 0
	s_andn2_b64 vcc, exec, s[24:25]
	s_cbranch_vccz .LBB0_31
	s_branch .LBB0_42
.LBB0_30:                               ;   in Loop: Header=BB0_4 Depth=1
	s_mov_b32 s4, s33
	s_andn2_b64 vcc, exec, s[24:25]
	s_cbranch_vccnz .LBB0_42
.LBB0_31:                               ;   in Loop: Header=BB0_4 Depth=1
	v_add_u32_e32 v26, s4, v5
	v_ashrrev_i32_e32 v27, 31, v26
	v_lshlrev_b64 v[26:27], 2, v[26:27]
	v_add_u32_e32 v28, s4, v42
	v_ashrrev_i32_e32 v29, 31, v28
	v_mov_b32_e32 v43, s17
	v_add_co_u32_e32 v26, vcc, s16, v26
	v_lshlrev_b64 v[28:29], 2, v[28:29]
	v_addc_co_u32_e32 v27, vcc, v43, v27, vcc
	v_add_co_u32_e32 v28, vcc, s16, v28
	v_addc_co_u32_e32 v29, vcc, v43, v29, vcc
	global_load_dword v26, v[26:27], off
	s_nop 0
	global_load_dword v28, v[28:29], off
	s_waitcnt vmcnt(1)
	v_sub_f32_e32 v26, v26, v33
	s_waitcnt vmcnt(0)
	v_sub_f32_e32 v27, v28, v31
	v_cmp_le_f32_e32 vcc, 0, v26
	v_cmp_le_f32_e64 s[2:3], 0, v27
	s_and_b64 s[2:3], vcc, s[2:3]
	s_and_saveexec_b64 s[36:37], s[2:3]
	s_xor_b64 s[2:3], exec, s[36:37]
	s_cbranch_execz .LBB0_33
; %bb.32:                               ;   in Loop: Header=BB0_4 Depth=1
	v_mov_b32_e32 v26, s4
	v_add_u32_e32 v39, 1, v39
	ds_write_b8 v26, v6 offset:1600
	ds_write_b8 v26, v35 offset:1603
	;; [unrolled: 1-line block ×3, first 2 shown]
                                        ; implicit-def: $vgpr26
                                        ; implicit-def: $vgpr28
                                        ; implicit-def: $vgpr31
                                        ; implicit-def: $vgpr27
.LBB0_33:                               ;   in Loop: Header=BB0_4 Depth=1
	s_andn2_saveexec_b64 s[36:37], s[2:3]
	s_cbranch_execz .LBB0_41
; %bb.34:                               ;   in Loop: Header=BB0_4 Depth=1
	v_cmp_ngt_f32_e32 vcc, 0, v26
	v_cmp_nlt_f32_e64 s[2:3], v28, v31
	s_or_b64 s[2:3], vcc, s[2:3]
	s_and_saveexec_b64 s[38:39], s[2:3]
	s_xor_b64 s[2:3], exec, s[38:39]
	s_cbranch_execz .LBB0_38
; %bb.35:                               ;   in Loop: Header=BB0_4 Depth=1
	v_mul_f32_e32 v26, v26, v27
	v_cmp_gt_f32_e32 vcc, 0, v26
	s_and_saveexec_b64 s[38:39], vcc
	s_cbranch_execz .LBB0_37
; %bb.36:                               ;   in Loop: Header=BB0_4 Depth=1
	v_add_u32_e32 v41, 1, v41
	v_mov_b32_e32 v26, s4
	ds_write_b8 v26, v35 offset:1600
	ds_write_b8 v26, v35 offset:1603
	;; [unrolled: 1-line block ×3, first 2 shown]
.LBB0_37:                               ;   in Loop: Header=BB0_4 Depth=1
	s_or_b64 exec, exec, s[38:39]
.LBB0_38:                               ;   in Loop: Header=BB0_4 Depth=1
	s_andn2_saveexec_b64 s[2:3], s[2:3]
	s_cbranch_execz .LBB0_40
; %bb.39:                               ;   in Loop: Header=BB0_4 Depth=1
	v_mov_b32_e32 v26, s4
	v_add_u32_e32 v40, 1, v40
	ds_write_b8 v26, v35 offset:1600
	ds_write_b8 v26, v6 offset:1603
	;; [unrolled: 1-line block ×3, first 2 shown]
.LBB0_40:                               ;   in Loop: Header=BB0_4 Depth=1
	s_or_b64 exec, exec, s[2:3]
.LBB0_41:                               ;   in Loop: Header=BB0_4 Depth=1
	s_or_b64 exec, exec, s[36:37]
.LBB0_42:                               ;   in Loop: Header=BB0_4 Depth=1
	v_mov_b32_e32 v26, s17
	v_add_co_u32_e32 v24, vcc, s16, v24
	v_addc_co_u32_e32 v25, vcc, v26, v25, vcc
	v_add_u32_e32 v26, v32, v34
	v_ashrrev_i32_e32 v27, 31, v26
	v_mov_b32_e32 v28, s7
	v_add_co_u32_e32 v26, vcc, s6, v26
	v_addc_co_u32_e32 v27, vcc, v28, v27, vcc
	s_mov_b32 s60, 0
	s_movk_i32 s61, 0x640
	s_branch .LBB0_48
.LBB0_43:                               ;   in Loop: Header=BB0_48 Depth=2
	v_mov_b32_e32 v30, v43
	global_store_dword v[3:4], v43, off
	global_store_dword v[9:10], v38, off
.LBB0_44:                               ;   in Loop: Header=BB0_48 Depth=2
	s_or_b64 exec, exec, s[40:41]
.LBB0_45:                               ;   in Loop: Header=BB0_48 Depth=2
	s_or_b64 exec, exec, s[2:3]
.LBB0_46:                               ;   in Loop: Header=BB0_48 Depth=2
	s_or_b64 exec, exec, s[38:39]
.LBB0_47:                               ;   in Loop: Header=BB0_48 Depth=2
	s_or_b64 exec, exec, s[36:37]
	s_add_i32 s60, s60, 1
	s_addk_i32 s61, 0xc8
	s_cmp_eq_u32 s60, 3
	s_cbranch_scc1 .LBB0_3
.LBB0_48:                               ;   Parent Loop BB0_4 Depth=1
                                        ; =>  This Loop Header: Depth=2
                                        ;       Child Loop BB0_57 Depth 3
                                        ;       Child Loop BB0_61 Depth 3
	;; [unrolled: 1-line block ×9, first 2 shown]
                                        ;         Child Loop BB0_99 Depth 4
                                        ;           Child Loop BB0_102 Depth 5
                                        ;           Child Loop BB0_106 Depth 5
	;; [unrolled: 1-line block ×4, first 2 shown]
                                        ;       Child Loop BB0_133 Depth 3
                                        ;       Child Loop BB0_137 Depth 3
	;; [unrolled: 1-line block ×4, first 2 shown]
	s_cmp_lt_i32 s60, 1
	v_mov_b32_e32 v28, v39
	s_cbranch_scc1 .LBB0_54
; %bb.49:                               ;   in Loop: Header=BB0_48 Depth=2
	s_cmp_lg_u32 s60, 1
	s_mov_b64 s[2:3], -1
	s_cbranch_scc0 .LBB0_51
; %bb.50:                               ;   in Loop: Header=BB0_48 Depth=2
	s_mov_b64 s[2:3], 0
.LBB0_51:                               ;   in Loop: Header=BB0_48 Depth=2
	s_andn2_b64 vcc, exec, s[2:3]
	s_cbranch_vccnz .LBB0_53
; %bb.52:                               ;   in Loop: Header=BB0_48 Depth=2
	v_mov_b32_e32 v38, v40
.LBB0_53:                               ;   in Loop: Header=BB0_48 Depth=2
	v_mov_b32_e32 v28, v38
.LBB0_54:                               ;   in Loop: Header=BB0_48 Depth=2
	s_cmp_eq_u32 s60, 2
	s_cselect_b64 vcc, -1, 0
	v_cndmask_b32_e32 v38, v28, v41, vcc
	v_cmp_lt_i32_e32 vcc, 10, v38
	s_and_saveexec_b64 s[36:37], vcc
	s_cbranch_execz .LBB0_47
; %bb.55:                               ;   in Loop: Header=BB0_48 Depth=2
	v_mov_b32_e32 v43, 0
	s_and_b64 vcc, exec, s[0:1]
	s_cbranch_vccnz .LBB0_58
; %bb.56:                               ;   in Loop: Header=BB0_48 Depth=2
	v_mov_b32_e32 v29, v12
	s_movk_i32 s2, 0x320
	v_mov_b32_e32 v28, v11
	s_mov_b32 s3, s10
	s_mov_b32 s4, s61
	v_mov_b32_e32 v42, 0
.LBB0_57:                               ;   Parent Loop BB0_4 Depth=1
                                        ;     Parent Loop BB0_48 Depth=2
                                        ; =>    This Inner Loop Header: Depth=3
	global_load_dword v31, v[28:29], off
	v_mov_b32_e32 v45, s4
	ds_read_u8 v45, v45
	v_add_co_u32_e32 v28, vcc, 4, v28
	v_mov_b32_e32 v44, s2
	v_addc_co_u32_e32 v29, vcc, 0, v29, vcc
	s_add_i32 s4, s4, 1
	s_add_i32 s3, s3, -1
	s_add_i32 s2, s2, 4
	s_waitcnt lgkmcnt(0)
	v_cmp_eq_u32_e32 vcc, 49, v45
	s_cmp_lg_u32 s3, 0
	s_waitcnt vmcnt(0)
	ds_write_b32 v44, v31
	v_add_f32_e32 v44, v42, v31
	v_add_f32_e32 v31, v43, v31
	v_cndmask_b32_e32 v42, v42, v44, vcc
	v_cndmask_b32_e32 v43, v31, v43, vcc
	s_cbranch_scc1 .LBB0_57
	s_branch .LBB0_59
.LBB0_58:                               ;   in Loop: Header=BB0_48 Depth=2
	v_mov_b32_e32 v42, 0
.LBB0_59:                               ;   in Loop: Header=BB0_48 Depth=2
	s_waitcnt vmcnt(0)
	v_cvt_f32_u32_e32 v31, v38
	v_div_scale_f32 v28, s[2:3], v31, v31, v42
	v_rcp_f32_e32 v29, v28
	v_fma_f32 v44, -v28, v29, 1.0
	v_fmac_f32_e32 v29, v44, v29
	v_div_scale_f32 v44, vcc, v42, v31, v42
	v_mul_f32_e32 v45, v44, v29
	v_fma_f32 v46, -v28, v45, v44
	v_fmac_f32_e32 v45, v46, v29
	v_fma_f32 v28, -v28, v45, v44
	v_div_fmas_f32 v28, v28, v29, v45
	v_div_fixup_f32 v44, v28, v31, v42
	v_sub_u32_e32 v28, s10, v38
	v_cvt_f32_i32_e32 v42, v28
	v_div_scale_f32 v28, s[2:3], v42, v42, v43
	v_rcp_f32_e32 v29, v28
	v_fma_f32 v45, -v28, v29, 1.0
	v_fmac_f32_e32 v29, v45, v29
	v_div_scale_f32 v45, vcc, v43, v42, v43
	v_mul_f32_e32 v46, v45, v29
	v_fma_f32 v47, -v28, v46, v45
	v_fmac_f32_e32 v46, v47, v29
	v_fma_f32 v28, -v28, v46, v45
	v_div_fmas_f32 v28, v28, v29, v46
	s_and_b64 vcc, exec, s[0:1]
	v_div_fixup_f32 v45, v28, v42, v43
	s_cbranch_vccnz .LBB0_72
; %bb.60:                               ;   in Loop: Header=BB0_48 Depth=2
	s_mov_b32 s2, 0
	v_mov_b32_e32 v29, 0
	s_movk_i32 s3, 0x320
	v_mov_b32_e32 v28, 0
.LBB0_61:                               ;   Parent Loop BB0_4 Depth=1
                                        ;     Parent Loop BB0_48 Depth=2
                                        ; =>    This Inner Loop Header: Depth=3
	s_add_i32 s4, s61, s2
	v_mov_b32_e32 v43, s3
	ds_read_b32 v43, v43
	v_mov_b32_e32 v46, s4
	ds_read_u8 v46, v46
	s_add_i32 s2, s2, 1
	s_add_i32 s3, s3, 4
	s_waitcnt lgkmcnt(1)
	v_sub_f32_e32 v47, v44, v43
	v_sub_f32_e32 v43, v45, v43
	v_fma_f32 v47, v47, v47, v28
	v_fma_f32 v43, v43, v43, v29
	s_waitcnt lgkmcnt(0)
	v_cmp_eq_u32_e32 vcc, 49, v46
	s_cmp_eq_u32 s10, s2
	v_cndmask_b32_e32 v28, v28, v47, vcc
	v_cndmask_b32_e32 v29, v43, v29, vcc
	s_cbranch_scc0 .LBB0_61
; %bb.62:                               ;   in Loop: Header=BB0_48 Depth=2
	v_mul_f32_e32 v43, 0x4f800000, v29
	v_cmp_gt_f32_e32 vcc, s58, v29
	v_cndmask_b32_e32 v29, v29, v43, vcc
	v_sqrt_f32_e32 v43, v29
	v_add_u32_e32 v46, -1, v43
	v_add_u32_e32 v47, 1, v43
	v_fma_f32 v48, -v46, v43, v29
	v_fma_f32 v49, -v47, v43, v29
	v_cmp_ge_f32_e64 s[2:3], 0, v48
	v_cndmask_b32_e64 v43, v43, v46, s[2:3]
	v_cmp_lt_f32_e64 s[2:3], 0, v49
	v_cndmask_b32_e64 v43, v43, v47, s[2:3]
	v_mul_f32_e32 v47, 0x4f800000, v28
	v_cmp_gt_f32_e64 s[2:3], s58, v28
	v_cndmask_b32_e64 v28, v28, v47, s[2:3]
	v_sqrt_f32_e32 v47, v28
	v_mul_f32_e32 v46, 0x37800000, v43
	v_cndmask_b32_e32 v43, v43, v46, vcc
	v_cmp_class_f32_e32 vcc, v29, v36
	v_cndmask_b32_e32 v43, v43, v29, vcc
	v_add_u32_e32 v29, -1, v47
	v_fma_f32 v46, -v29, v47, v28
	v_cmp_ge_f32_e32 vcc, 0, v46
	v_add_u32_e32 v46, 1, v47
	v_cndmask_b32_e32 v29, v47, v29, vcc
	v_fma_f32 v47, -v46, v47, v28
	v_cmp_lt_f32_e32 vcc, 0, v47
	v_cndmask_b32_e32 v29, v29, v46, vcc
	v_mul_f32_e32 v46, 0x37800000, v29
	v_cndmask_b32_e64 v29, v29, v46, s[2:3]
	v_cmp_class_f32_e32 vcc, v28, v36
	v_cndmask_b32_e32 v47, v29, v28, vcc
	s_and_b64 vcc, exec, s[0:1]
	s_cbranch_vccnz .LBB0_73
.LBB0_63:                               ;   in Loop: Header=BB0_48 Depth=2
	v_mov_b32_e32 v29, v25
	s_mov_b32 s2, 0
	v_mov_b32_e32 v50, 0
	v_mov_b32_e32 v28, v24
	;; [unrolled: 1-line block ×3, first 2 shown]
	s_mov_b32 s3, 0
.LBB0_64:                               ;   Parent Loop BB0_4 Depth=1
                                        ;     Parent Loop BB0_48 Depth=2
                                        ; =>    This Inner Loop Header: Depth=3
	global_load_dword v46, v[28:29], off
	s_add_i32 s4, s61, s3
	v_mov_b32_e32 v49, s4
	ds_read_u8 v49, v49
	v_add_co_u32_e32 v28, vcc, 4, v28
	v_mov_b32_e32 v48, s2
	v_addc_co_u32_e32 v29, vcc, 0, v29, vcc
	s_add_i32 s3, s3, 1
	s_add_i32 s2, s2, 4
	s_waitcnt lgkmcnt(0)
	v_cmp_eq_u32_e32 vcc, 49, v49
	s_cmp_lg_u32 s10, s3
	s_waitcnt vmcnt(0)
	ds_write_b32 v48, v46
	v_add_f32_e32 v48, v51, v46
	v_add_f32_e32 v46, v50, v46
	v_cndmask_b32_e32 v51, v51, v48, vcc
	v_cndmask_b32_e32 v50, v46, v50, vcc
	s_cbranch_scc1 .LBB0_64
; %bb.65:                               ;   in Loop: Header=BB0_48 Depth=2
	v_div_scale_f32 v28, s[2:3], v31, v31, v51
	v_div_scale_f32 v29, s[2:3], v42, v42, v50
	v_div_scale_f32 v46, vcc, v51, v31, v51
	v_div_scale_f32 v48, s[2:3], v50, v42, v50
	s_mov_b32 s4, 0
	s_mov_b32 s38, 0
	v_rcp_f32_e32 v49, v28
	v_rcp_f32_e32 v52, v29
	v_fma_f32 v53, -v28, v49, 1.0
	v_fmac_f32_e32 v49, v53, v49
	v_fma_f32 v54, -v29, v52, 1.0
	v_fmac_f32_e32 v52, v54, v52
	v_mul_f32_e32 v53, v46, v49
	v_mul_f32_e32 v54, v48, v52
	v_fma_f32 v55, -v28, v53, v46
	v_fma_f32 v56, -v29, v54, v48
	v_fmac_f32_e32 v53, v55, v49
	v_fmac_f32_e32 v54, v56, v52
	v_fma_f32 v28, -v28, v53, v46
	v_fma_f32 v29, -v29, v54, v48
	v_div_fmas_f32 v28, v28, v49, v53
	s_mov_b64 vcc, s[2:3]
	v_div_fmas_f32 v29, v29, v52, v54
	v_mov_b32_e32 v49, 0
	v_mov_b32_e32 v46, 0
	;; [unrolled: 1-line block ×4, first 2 shown]
	v_div_fixup_f32 v51, v28, v31, v51
	v_div_fixup_f32 v50, v29, v42, v50
	s_branch .LBB0_67
.LBB0_66:                               ;   in Loop: Header=BB0_67 Depth=3
	s_waitcnt lgkmcnt(0)
	v_sub_f32_e32 v29, v44, v29
	v_sub_f32_e32 v28, v51, v28
	v_fmac_f32_e32 v48, v29, v28
	v_fmac_f32_e32 v52, v28, v28
	s_add_i32 s38, s38, 1
	s_add_i32 s4, s4, 4
	s_cmp_lg_u32 s10, s38
	s_cbranch_scc0 .LBB0_71
.LBB0_67:                               ;   Parent Loop BB0_4 Depth=1
                                        ;     Parent Loop BB0_48 Depth=2
                                        ; =>    This Inner Loop Header: Depth=3
	s_add_i32 s2, s61, s38
	s_waitcnt lgkmcnt(0)
	v_mov_b32_e32 v28, s2
	ds_read_u8 v53, v28
	v_mov_b32_e32 v28, s4
	ds_read2_b32 v[28:29], v28 offset1:200
	s_mov_b64 s[2:3], -1
                                        ; implicit-def: $vgpr54
	s_waitcnt lgkmcnt(1)
	v_cmp_ne_u32_e32 vcc, 49, v53
                                        ; implicit-def: $vgpr53
	s_cbranch_vccz .LBB0_69
; %bb.68:                               ;   in Loop: Header=BB0_67 Depth=3
	s_waitcnt lgkmcnt(0)
	v_sub_f32_e32 v53, v45, v29
	v_sub_f32_e32 v55, v50, v28
	v_fma_f32 v54, v53, v55, v46
	v_fma_f32 v53, v55, v55, v49
	s_mov_b64 s[2:3], 0
.LBB0_69:                               ;   in Loop: Header=BB0_67 Depth=3
	s_andn2_b64 vcc, exec, s[2:3]
	s_cbranch_vccz .LBB0_66
; %bb.70:                               ;   in Loop: Header=BB0_67 Depth=3
	v_mov_b32_e32 v46, v54
	v_mov_b32_e32 v49, v53
	s_add_i32 s38, s38, 1
	s_add_i32 s4, s4, 4
	s_cmp_lg_u32 s10, s38
	s_cbranch_scc1 .LBB0_67
.LBB0_71:                               ;   in Loop: Header=BB0_48 Depth=2
	s_waitcnt lgkmcnt(0)
	v_mul_f32_e32 v28, 0x4f800000, v52
	v_cmp_gt_f32_e32 vcc, s58, v52
	v_cndmask_b32_e32 v28, v52, v28, vcc
	v_sqrt_f32_e32 v29, v28
	v_add_u32_e32 v44, -1, v29
	v_fma_f32 v50, -v44, v29, v28
	v_add_u32_e32 v45, 1, v29
	v_cmp_ge_f32_e64 s[2:3], 0, v50
	v_cndmask_b32_e64 v44, v29, v44, s[2:3]
	v_fma_f32 v29, -v45, v29, v28
	v_cmp_lt_f32_e64 s[2:3], 0, v29
	v_cndmask_b32_e64 v29, v44, v45, s[2:3]
	v_mul_f32_e32 v45, 0x4f800000, v49
	v_cmp_gt_f32_e64 s[2:3], s58, v49
	v_cndmask_b32_e64 v45, v49, v45, s[2:3]
	v_sqrt_f32_e32 v49, v45
	v_mul_f32_e32 v44, 0x37800000, v29
	v_cndmask_b32_e32 v29, v29, v44, vcc
	v_cmp_class_f32_e32 vcc, v28, v36
	v_cndmask_b32_e32 v28, v29, v28, vcc
	v_add_u32_e32 v29, -1, v49
	v_fma_f32 v44, -v29, v49, v45
	v_cmp_ge_f32_e32 vcc, 0, v44
	v_add_u32_e32 v44, 1, v49
	v_cndmask_b32_e32 v29, v49, v29, vcc
	v_fma_f32 v49, -v44, v49, v45
	v_cmp_lt_f32_e32 vcc, 0, v49
	v_cndmask_b32_e32 v29, v29, v44, vcc
	v_mul_f32_e32 v44, 0x37800000, v29
	v_cndmask_b32_e64 v29, v29, v44, s[2:3]
	v_cmp_class_f32_e32 vcc, v45, v36
	v_cndmask_b32_e32 v44, v29, v45, vcc
	s_branch .LBB0_74
.LBB0_72:                               ;   in Loop: Header=BB0_48 Depth=2
	v_mov_b32_e32 v43, 0
	v_mov_b32_e32 v47, 0
	s_and_b64 vcc, exec, s[0:1]
	s_cbranch_vccz .LBB0_63
.LBB0_73:                               ;   in Loop: Header=BB0_48 Depth=2
	v_mov_b32_e32 v44, 0
	v_mov_b32_e32 v46, 0
	;; [unrolled: 1-line block ×4, first 2 shown]
.LBB0_74:                               ;   in Loop: Header=BB0_48 Depth=2
	v_mul_f32_e32 v28, v47, v28
	v_div_scale_f32 v29, s[2:3], v28, v28, v48
	v_div_scale_f32 v45, vcc, v48, v28, v48
	v_rcp_f32_e32 v47, v29
	v_fma_f32 v49, -v29, v47, 1.0
	v_fmac_f32_e32 v47, v49, v47
	v_mul_f32_e32 v49, v45, v47
	v_fma_f32 v50, -v29, v49, v45
	v_fmac_f32_e32 v49, v50, v47
	v_fma_f32 v29, -v29, v49, v45
	v_div_fmas_f32 v29, v29, v47, v49
	v_div_fixup_f32 v28, v29, v28, v48
	v_cmp_lt_f32_e64 s[2:3], s11, |v28|
	s_and_saveexec_b64 s[38:39], s[2:3]
	s_cbranch_execz .LBB0_46
; %bb.75:                               ;   in Loop: Header=BB0_48 Depth=2
	s_and_b64 vcc, exec, s[0:1]
	s_cbranch_vccnz .LBB0_83
; %bb.76:                               ;   in Loop: Header=BB0_48 Depth=2
	s_andn2_b64 vcc, exec, s[26:27]
	s_cbranch_vccnz .LBB0_80
; %bb.77:                               ;   in Loop: Header=BB0_48 Depth=2
	v_mov_b32_e32 v29, v16
	s_mov_b32 s40, 0
	v_mov_b32_e32 v28, v15
.LBB0_78:                               ;   Parent Loop BB0_4 Depth=1
                                        ;     Parent Loop BB0_48 Depth=2
                                        ; =>    This Inner Loop Header: Depth=3
	s_add_i32 s41, s61, s40
	v_mov_b32_e32 v45, s41
	ds_read_b32 v45, v45
	s_add_i32 s40, s40, 4
	s_mov_b32 s4, s54
	s_mov_b64 s[2:3], s[28:29]
	s_cmp_lg_u32 s54, s40
	s_waitcnt lgkmcnt(0)
	global_store_dword v[28:29], v45, off
	v_add_co_u32_e32 v28, vcc, 4, v28
	v_addc_co_u32_e32 v29, vcc, 0, v29, vcc
	s_cbranch_scc1 .LBB0_78
; %bb.79:                               ;   in Loop: Header=BB0_48 Depth=2
	s_and_b64 vcc, exec, s[2:3]
	s_cbranch_vccnz .LBB0_81
	s_branch .LBB0_83
.LBB0_80:                               ;   in Loop: Header=BB0_48 Depth=2
	s_mov_b32 s4, 0
	s_cbranch_execz .LBB0_83
.LBB0_81:                               ;   in Loop: Header=BB0_48 Depth=2
	v_add_co_u32_e32 v28, vcc, s4, v15
	v_addc_co_u32_e32 v29, vcc, 0, v16, vcc
.LBB0_82:                               ;   Parent Loop BB0_4 Depth=1
                                        ;     Parent Loop BB0_48 Depth=2
                                        ; =>    This Inner Loop Header: Depth=3
	s_add_i32 s2, s61, s4
	v_mov_b32_e32 v45, s2
	ds_read_u8 v45, v45
	s_add_i32 s4, s4, 1
	s_cmp_eq_u32 s10, s4
	s_waitcnt lgkmcnt(0)
	global_store_byte v[28:29], v45, off
	v_add_co_u32_e32 v28, vcc, 1, v28
	v_addc_co_u32_e32 v29, vcc, 0, v29, vcc
	s_cbranch_scc0 .LBB0_82
.LBB0_83:                               ;   in Loop: Header=BB0_48 Depth=2
	v_mul_f32_e32 v28, v43, v44
	v_div_scale_f32 v29, s[2:3], v28, v28, v46
	v_div_scale_f32 v43, vcc, v46, v28, v46
	s_mov_b64 s[40:41], -1
	v_rcp_f32_e32 v44, v29
	v_fma_f32 v45, -v29, v44, 1.0
	v_fmac_f32_e32 v44, v45, v44
	v_mul_f32_e32 v45, v43, v44
	v_fma_f32 v47, -v29, v45, v43
	v_fmac_f32_e32 v45, v47, v44
	v_fma_f32 v29, -v29, v45, v43
	v_div_fmas_f32 v29, v29, v44, v45
	s_and_b64 vcc, exec, s[22:23]
	v_div_fixup_f32 v28, v29, v28, v46
	v_cmp_lt_f32_e64 s[2:3], s11, |v28|
	s_cbranch_vccz .LBB0_85
; %bb.84:                               ;   in Loop: Header=BB0_48 Depth=2
	global_store_byte v[7:8], v6, off
	global_store_byte v[26:27], v6, off
	s_mov_b64 s[40:41], 0
.LBB0_85:                               ;   in Loop: Header=BB0_48 Depth=2
	s_andn2_b64 vcc, exec, s[40:41]
	v_cndmask_b32_e64 v44, 0, 1, s[2:3]
	s_cbranch_vccnz .LBB0_89
; %bb.86:                               ;   in Loop: Header=BB0_48 Depth=2
	v_mov_b32_e32 v29, v18
	s_andn2_b64 vcc, exec, s[30:31]
	v_mov_b32_e32 v28, v17
	s_mov_b32 s40, s55
	s_cbranch_vccnz .LBB0_90
.LBB0_87:                               ;   Parent Loop BB0_4 Depth=1
                                        ;     Parent Loop BB0_48 Depth=2
                                        ; =>    This Inner Loop Header: Depth=3
	global_store_dword v[28:29], v37, off
	s_add_i32 s40, s40, -4
	v_add_co_u32_e32 v28, vcc, 4, v28
	v_addc_co_u32_e32 v29, vcc, 0, v29, vcc
	s_mov_b32 s4, s55
	s_cmp_lg_u32 s40, 0
	s_mov_b64 s[2:3], s[34:35]
	s_cbranch_scc1 .LBB0_87
; %bb.88:                               ;   in Loop: Header=BB0_48 Depth=2
	s_and_b64 vcc, exec, s[2:3]
	s_cbranch_vccnz .LBB0_91
	s_branch .LBB0_93
.LBB0_89:                               ;   in Loop: Header=BB0_48 Depth=2
	v_mov_b32_e32 v28, 1.0
	v_mov_b32_e32 v43, 2
	s_branch .LBB0_129
.LBB0_90:                               ;   in Loop: Header=BB0_48 Depth=2
	s_mov_b32 s4, 0
	s_cbranch_execz .LBB0_93
.LBB0_91:                               ;   in Loop: Header=BB0_48 Depth=2
	v_add_co_u32_e32 v28, vcc, s4, v17
	s_sub_i32 s2, s8, s4
	v_addc_co_u32_e32 v29, vcc, 0, v18, vcc
.LBB0_92:                               ;   Parent Loop BB0_4 Depth=1
                                        ;     Parent Loop BB0_48 Depth=2
                                        ; =>    This Inner Loop Header: Depth=3
	global_store_byte v[28:29], v35, off
	s_add_i32 s2, s2, -1
	v_add_co_u32_e32 v28, vcc, 1, v28
	s_cmp_lg_u32 s2, 0
	v_addc_co_u32_e32 v29, vcc, 0, v29, vcc
	s_cbranch_scc1 .LBB0_92
.LBB0_93:                               ;   in Loop: Header=BB0_48 Depth=2
	v_mov_b32_e32 v45, 1
	v_mov_b32_e32 v43, 2
	s_mov_b32 s40, 0
	s_mov_b32 s62, 0
	global_store_byte v[7:8], v6, off
	global_store_byte v[26:27], v6, off
	s_branch .LBB0_96
.LBB0_94:                               ;   in Loop: Header=BB0_96 Depth=3
	s_or_b64 exec, exec, s[2:3]
.LBB0_95:                               ;   in Loop: Header=BB0_96 Depth=3
	s_or_b64 exec, exec, s[42:43]
	s_add_i32 s62, s62, 1
	s_add_i32 s40, s40, s9
	s_cmp_lg_u32 s62, s8
	s_cbranch_scc0 .LBB0_128
.LBB0_96:                               ;   Parent Loop BB0_4 Depth=1
                                        ;     Parent Loop BB0_48 Depth=2
                                        ; =>    This Loop Header: Depth=3
                                        ;         Child Loop BB0_99 Depth 4
                                        ;           Child Loop BB0_102 Depth 5
                                        ;           Child Loop BB0_106 Depth 5
	;; [unrolled: 1-line block ×4, first 2 shown]
	v_cmp_ne_u32_e32 vcc, s62, v32
	v_cmp_ne_u32_e64 s[2:3], s62, v0
	s_and_b64 s[2:3], vcc, s[2:3]
	s_and_saveexec_b64 s[42:43], s[2:3]
	s_cbranch_execz .LBB0_95
; %bb.97:                               ;   in Loop: Header=BB0_96 Depth=3
	s_mov_b32 s41, s5
	s_lshl_b64 s[2:3], s[40:41], 2
	s_add_u32 s44, s16, s2
	s_mov_b32 s4, 0
	s_addc_u32 s45, s17, s3
	s_mov_b64 s[46:47], 0
	v_mov_b32_e32 v46, 0
	v_mov_b32_e32 v47, 0
	s_mov_b32 s41, s4
	s_branch .LBB0_99
.LBB0_98:                               ;   in Loop: Header=BB0_99 Depth=4
	s_or_b64 exec, exec, s[50:51]
	s_and_b64 s[2:3], exec, s[48:49]
	s_or_b64 s[46:47], s[2:3], s[46:47]
	s_andn2_b64 exec, exec, s[46:47]
	s_cbranch_execz .LBB0_126
.LBB0_99:                               ;   Parent Loop BB0_4 Depth=1
                                        ;     Parent Loop BB0_48 Depth=2
                                        ;       Parent Loop BB0_96 Depth=3
                                        ; =>      This Loop Header: Depth=4
                                        ;           Child Loop BB0_102 Depth 5
                                        ;           Child Loop BB0_106 Depth 5
                                        ;           Child Loop BB0_109 Depth 5
                                        ;           Child Loop BB0_112 Depth 5
	v_add_u32_e32 v28, s41, v34
	v_ashrrev_i32_e32 v29, 31, v28
	v_mov_b32_e32 v48, s7
	v_add_co_u32_e32 v28, vcc, s6, v28
	v_addc_co_u32_e32 v29, vcc, v48, v29, vcc
	global_load_ubyte v28, v[28:29], off
	s_mov_b64 s[48:49], -1
	s_mov_b64 s[2:3], -1
	s_waitcnt vmcnt(0)
	v_cmp_eq_u16_e32 vcc, 49, v28
	s_and_saveexec_b64 s[50:51], vcc
	s_cbranch_execz .LBB0_124
; %bb.100:                              ;   in Loop: Header=BB0_99 Depth=4
	s_and_b64 vcc, exec, s[0:1]
	s_cbranch_vccnz .LBB0_103
; %bb.101:                              ;   in Loop: Header=BB0_99 Depth=4
	s_mov_b32 s52, 0
	s_movk_i32 s53, 0x320
	v_mov_b32_e32 v28, 0
	v_mov_b32_e32 v29, 0
	s_mov_b64 s[2:3], s[44:45]
.LBB0_102:                              ;   Parent Loop BB0_4 Depth=1
                                        ;     Parent Loop BB0_48 Depth=2
                                        ;       Parent Loop BB0_96 Depth=3
                                        ;         Parent Loop BB0_99 Depth=4
                                        ; =>        This Inner Loop Header: Depth=5
	s_add_i32 s64, s61, s52
	v_mov_b32_e32 v49, s64
	s_load_dword s63, s[2:3], 0x0
	ds_read_u8 v49, v49
	v_mov_b32_e32 v48, s53
	s_add_i32 s52, s52, 1
	s_add_i32 s53, s53, 4
	s_add_u32 s2, s2, 4
	s_addc_u32 s3, s3, 0
	s_waitcnt lgkmcnt(0)
	v_add_f32_e32 v51, s63, v29
	v_add_f32_e32 v52, s63, v28
	v_cmp_eq_u32_e32 vcc, 49, v49
	s_cmp_lg_u32 s10, s52
	v_mov_b32_e32 v50, s63
	v_cndmask_b32_e32 v29, v29, v51, vcc
	v_cndmask_b32_e32 v28, v52, v28, vcc
	ds_write_b32 v48, v50
	s_cbranch_scc1 .LBB0_102
	s_branch .LBB0_104
.LBB0_103:                              ;   in Loop: Header=BB0_99 Depth=4
	v_mov_b32_e32 v28, 0
	v_mov_b32_e32 v29, 0
.LBB0_104:                              ;   in Loop: Header=BB0_99 Depth=4
	v_div_scale_f32 v48, s[2:3], v31, v31, v29
	v_div_scale_f32 v49, s[2:3], v42, v42, v28
	v_div_scale_f32 v50, vcc, v29, v31, v29
	v_div_scale_f32 v51, s[2:3], v28, v42, v28
	v_rcp_f32_e32 v52, v48
	v_rcp_f32_e32 v53, v49
	v_fma_f32 v54, -v48, v52, 1.0
	v_fmac_f32_e32 v52, v54, v52
	v_fma_f32 v55, -v49, v53, 1.0
	v_fmac_f32_e32 v53, v55, v53
	v_mul_f32_e32 v54, v50, v52
	v_mul_f32_e32 v55, v51, v53
	v_fma_f32 v56, -v48, v54, v50
	v_fma_f32 v57, -v49, v55, v51
	v_fmac_f32_e32 v54, v56, v52
	v_fmac_f32_e32 v55, v57, v53
	v_fma_f32 v48, -v48, v54, v50
	v_fma_f32 v49, -v49, v55, v51
	v_div_fmas_f32 v48, v48, v52, v54
	s_mov_b64 vcc, s[2:3]
	v_div_fmas_f32 v50, v49, v53, v55
	s_and_b64 vcc, exec, s[0:1]
	v_div_fixup_f32 v49, v48, v31, v29
	v_div_fixup_f32 v50, v50, v42, v28
	s_cbranch_vccnz .LBB0_117
; %bb.105:                              ;   in Loop: Header=BB0_99 Depth=4
	s_mov_b32 s2, 0
	v_mov_b32_e32 v29, 0
	s_movk_i32 s3, 0x320
	v_mov_b32_e32 v28, 0
.LBB0_106:                              ;   Parent Loop BB0_4 Depth=1
                                        ;     Parent Loop BB0_48 Depth=2
                                        ;       Parent Loop BB0_96 Depth=3
                                        ;         Parent Loop BB0_99 Depth=4
                                        ; =>        This Inner Loop Header: Depth=5
	s_add_i32 s52, s61, s2
	v_mov_b32_e32 v48, s3
	ds_read_b32 v48, v48
	v_mov_b32_e32 v51, s52
	ds_read_u8 v51, v51
	s_add_i32 s2, s2, 1
	s_add_i32 s3, s3, 4
	s_waitcnt lgkmcnt(1)
	v_sub_f32_e32 v52, v49, v48
	v_sub_f32_e32 v48, v50, v48
	v_fma_f32 v52, v52, v52, v28
	v_fma_f32 v48, v48, v48, v29
	s_waitcnt lgkmcnt(0)
	v_cmp_eq_u32_e32 vcc, 49, v51
	s_cmp_eq_u32 s10, s2
	v_cndmask_b32_e32 v28, v28, v52, vcc
	v_cndmask_b32_e32 v29, v48, v29, vcc
	s_cbranch_scc0 .LBB0_106
; %bb.107:                              ;   in Loop: Header=BB0_99 Depth=4
	v_mul_f32_e32 v48, 0x4f800000, v29
	v_cmp_gt_f32_e32 vcc, s58, v29
	v_cndmask_b32_e32 v29, v29, v48, vcc
	v_sqrt_f32_e32 v48, v29
	v_add_u32_e32 v51, -1, v48
	v_fma_f32 v53, -v51, v48, v29
	v_add_u32_e32 v52, 1, v48
	v_cmp_ge_f32_e64 s[2:3], 0, v53
	v_cndmask_b32_e64 v51, v48, v51, s[2:3]
	v_fma_f32 v48, -v52, v48, v29
	v_cmp_lt_f32_e64 s[2:3], 0, v48
	v_cndmask_b32_e64 v48, v51, v52, s[2:3]
	v_mul_f32_e32 v52, 0x4f800000, v28
	v_cmp_gt_f32_e64 s[2:3], s58, v28
	v_cndmask_b32_e64 v28, v28, v52, s[2:3]
	v_sqrt_f32_e32 v52, v28
	v_mul_f32_e32 v51, 0x37800000, v48
	v_cndmask_b32_e32 v48, v48, v51, vcc
	v_cmp_class_f32_e32 vcc, v29, v36
	v_cndmask_b32_e32 v48, v48, v29, vcc
	v_add_u32_e32 v29, -1, v52
	v_fma_f32 v51, -v29, v52, v28
	v_cmp_ge_f32_e32 vcc, 0, v51
	v_add_u32_e32 v51, 1, v52
	v_cndmask_b32_e32 v29, v52, v29, vcc
	v_fma_f32 v52, -v51, v52, v28
	v_cmp_lt_f32_e32 vcc, 0, v52
	v_cndmask_b32_e32 v29, v29, v51, vcc
	v_mul_f32_e32 v51, 0x37800000, v29
	v_cndmask_b32_e64 v29, v29, v51, s[2:3]
	v_cmp_class_f32_e32 vcc, v28, v36
	v_cndmask_b32_e32 v51, v29, v28, vcc
	s_and_b64 vcc, exec, s[0:1]
	s_cbranch_vccnz .LBB0_118
.LBB0_108:                              ;   in Loop: Header=BB0_99 Depth=4
	s_lshl_b64 s[2:3], s[4:5], 2
	s_add_u32 s2, s16, s2
	s_addc_u32 s3, s17, s3
	s_mov_b32 s52, 0
	v_mov_b32_e32 v28, 0
	v_mov_b32_e32 v29, 0
	s_mov_b32 s53, 0
.LBB0_109:                              ;   Parent Loop BB0_4 Depth=1
                                        ;     Parent Loop BB0_48 Depth=2
                                        ;       Parent Loop BB0_96 Depth=3
                                        ;         Parent Loop BB0_99 Depth=4
                                        ; =>        This Inner Loop Header: Depth=5
	s_add_i32 s64, s61, s53
	v_mov_b32_e32 v53, s64
	s_load_dword s63, s[2:3], 0x0
	ds_read_u8 v53, v53
	v_mov_b32_e32 v52, s52
	s_add_i32 s53, s53, 1
	s_add_i32 s52, s52, 4
	s_add_u32 s2, s2, 4
	s_addc_u32 s3, s3, 0
	s_waitcnt lgkmcnt(0)
	v_add_f32_e32 v55, s63, v29
	v_add_f32_e32 v56, s63, v28
	v_cmp_eq_u32_e32 vcc, 49, v53
	s_cmp_lg_u32 s10, s53
	v_mov_b32_e32 v54, s63
	v_cndmask_b32_e32 v29, v29, v55, vcc
	v_cndmask_b32_e32 v28, v56, v28, vcc
	ds_write_b32 v52, v54
	s_cbranch_scc1 .LBB0_109
; %bb.110:                              ;   in Loop: Header=BB0_99 Depth=4
	v_div_scale_f32 v52, s[2:3], v31, v31, v29
	v_div_scale_f32 v53, s[2:3], v42, v42, v28
	v_div_scale_f32 v54, vcc, v29, v31, v29
	v_div_scale_f32 v55, s[2:3], v28, v42, v28
	s_mov_b32 s52, 0
	s_mov_b32 s53, 0
	v_rcp_f32_e32 v56, v52
	v_rcp_f32_e32 v57, v53
	v_fma_f32 v58, -v52, v56, 1.0
	v_fmac_f32_e32 v56, v58, v56
	v_fma_f32 v59, -v53, v57, 1.0
	v_fmac_f32_e32 v57, v59, v57
	v_mul_f32_e32 v58, v54, v56
	v_mul_f32_e32 v59, v55, v57
	v_fma_f32 v60, -v52, v58, v54
	v_fma_f32 v61, -v53, v59, v55
	v_fmac_f32_e32 v58, v60, v56
	v_fmac_f32_e32 v59, v61, v57
	v_fma_f32 v52, -v52, v58, v54
	v_fma_f32 v53, -v53, v59, v55
	v_div_fmas_f32 v56, v52, v56, v58
	s_mov_b64 vcc, s[2:3]
	v_div_fmas_f32 v57, v53, v57, v59
	v_mov_b32_e32 v54, 0
	v_mov_b32_e32 v52, 0
	;; [unrolled: 1-line block ×4, first 2 shown]
	v_div_fixup_f32 v56, v56, v31, v29
	v_div_fixup_f32 v57, v57, v42, v28
	s_branch .LBB0_112
.LBB0_111:                              ;   in Loop: Header=BB0_112 Depth=5
	s_waitcnt lgkmcnt(0)
	v_sub_f32_e32 v29, v49, v29
	v_sub_f32_e32 v28, v56, v28
	v_fmac_f32_e32 v53, v29, v28
	v_fmac_f32_e32 v55, v28, v28
	s_add_i32 s53, s53, 1
	s_add_i32 s52, s52, 4
	s_cmp_lg_u32 s10, s53
	s_cbranch_scc0 .LBB0_116
.LBB0_112:                              ;   Parent Loop BB0_4 Depth=1
                                        ;     Parent Loop BB0_48 Depth=2
                                        ;       Parent Loop BB0_96 Depth=3
                                        ;         Parent Loop BB0_99 Depth=4
                                        ; =>        This Inner Loop Header: Depth=5
	s_add_i32 s2, s61, s53
	s_waitcnt lgkmcnt(0)
	v_mov_b32_e32 v28, s2
	ds_read_u8 v58, v28
	v_mov_b32_e32 v28, s52
	ds_read2_b32 v[28:29], v28 offset1:200
	s_mov_b64 s[2:3], -1
                                        ; implicit-def: $vgpr59
	s_waitcnt lgkmcnt(1)
	v_cmp_ne_u32_e32 vcc, 49, v58
                                        ; implicit-def: $vgpr58
	s_cbranch_vccz .LBB0_114
; %bb.113:                              ;   in Loop: Header=BB0_112 Depth=5
	s_waitcnt lgkmcnt(0)
	v_sub_f32_e32 v58, v50, v29
	v_sub_f32_e32 v60, v57, v28
	v_fma_f32 v59, v58, v60, v52
	v_fma_f32 v58, v60, v60, v54
	s_mov_b64 s[2:3], 0
.LBB0_114:                              ;   in Loop: Header=BB0_112 Depth=5
	s_andn2_b64 vcc, exec, s[2:3]
	s_cbranch_vccz .LBB0_111
; %bb.115:                              ;   in Loop: Header=BB0_112 Depth=5
	v_mov_b32_e32 v52, v59
	v_mov_b32_e32 v54, v58
	s_add_i32 s53, s53, 1
	s_add_i32 s52, s52, 4
	s_cmp_lg_u32 s10, s53
	s_cbranch_scc1 .LBB0_112
.LBB0_116:                              ;   in Loop: Header=BB0_99 Depth=4
	s_waitcnt lgkmcnt(0)
	v_mul_f32_e32 v28, 0x4f800000, v55
	v_cmp_gt_f32_e32 vcc, s58, v55
	v_cndmask_b32_e32 v28, v55, v28, vcc
	v_sqrt_f32_e32 v29, v28
	v_add_u32_e32 v49, -1, v29
	v_fma_f32 v55, -v49, v29, v28
	v_add_u32_e32 v50, 1, v29
	v_cmp_ge_f32_e64 s[2:3], 0, v55
	v_cndmask_b32_e64 v49, v29, v49, s[2:3]
	v_fma_f32 v29, -v50, v29, v28
	v_cmp_lt_f32_e64 s[2:3], 0, v29
	v_cndmask_b32_e64 v29, v49, v50, s[2:3]
	v_mul_f32_e32 v50, 0x4f800000, v54
	v_cmp_gt_f32_e64 s[2:3], s58, v54
	v_cndmask_b32_e64 v50, v54, v50, s[2:3]
	v_sqrt_f32_e32 v54, v50
	v_mul_f32_e32 v49, 0x37800000, v29
	v_cndmask_b32_e32 v29, v29, v49, vcc
	v_cmp_class_f32_e32 vcc, v28, v36
	v_cndmask_b32_e32 v29, v29, v28, vcc
	v_add_u32_e32 v28, -1, v54
	v_fma_f32 v49, -v28, v54, v50
	v_cmp_ge_f32_e32 vcc, 0, v49
	v_add_u32_e32 v49, 1, v54
	v_cndmask_b32_e32 v28, v54, v28, vcc
	v_fma_f32 v54, -v49, v54, v50
	v_cmp_lt_f32_e32 vcc, 0, v54
	v_cndmask_b32_e32 v28, v28, v49, vcc
	v_mul_f32_e32 v49, 0x37800000, v28
	v_cndmask_b32_e64 v28, v28, v49, s[2:3]
	v_cmp_class_f32_e32 vcc, v50, v36
	v_cndmask_b32_e32 v28, v28, v50, vcc
	s_branch .LBB0_119
.LBB0_117:                              ;   in Loop: Header=BB0_99 Depth=4
	v_mov_b32_e32 v48, 0
	v_mov_b32_e32 v51, 0
	s_and_b64 vcc, exec, s[0:1]
	s_cbranch_vccz .LBB0_108
.LBB0_118:                              ;   in Loop: Header=BB0_99 Depth=4
	v_mov_b32_e32 v28, 0
	v_mov_b32_e32 v52, 0
	;; [unrolled: 1-line block ×4, first 2 shown]
.LBB0_119:                              ;   in Loop: Header=BB0_99 Depth=4
	v_mul_f32_e32 v29, v51, v29
	v_div_scale_f32 v49, s[2:3], v29, v29, v53
	v_div_scale_f32 v50, vcc, v53, v29, v53
	s_mov_b64 s[52:53], 0
	v_rcp_f32_e32 v51, v49
	v_fma_f32 v54, -v49, v51, 1.0
	v_fmac_f32_e32 v51, v54, v51
	v_mul_f32_e32 v54, v50, v51
	v_fma_f32 v55, -v49, v54, v50
	v_fmac_f32_e32 v54, v55, v51
	v_fma_f32 v49, -v49, v54, v50
	v_div_fmas_f32 v49, v49, v51, v54
	v_div_fixup_f32 v29, v49, v29, v53
	v_cmp_lt_f32_e64 s[64:65], s11, |v29|
	v_mov_b32_e32 v29, 0
	s_and_saveexec_b64 s[2:3], s[64:65]
	s_cbranch_execz .LBB0_123
; %bb.120:                              ;   in Loop: Header=BB0_99 Depth=4
	v_mul_f32_e32 v28, v48, v28
	v_div_scale_f32 v29, s[52:53], v28, v28, v52
	v_div_scale_f32 v48, vcc, v52, v28, v52
	v_rcp_f32_e32 v49, v29
	v_fma_f32 v50, -v29, v49, 1.0
	v_fmac_f32_e32 v49, v50, v49
	v_mul_f32_e32 v50, v48, v49
	v_fma_f32 v51, -v29, v50, v48
	v_fmac_f32_e32 v50, v51, v49
	v_fma_f32 v29, -v29, v50, v48
	v_div_fmas_f32 v29, v29, v49, v50
	v_div_fixup_f32 v28, v29, v28, v52
	v_cmp_lt_f32_e64 s[64:65], s11, |v28|
	s_and_saveexec_b64 s[52:53], s[64:65]
; %bb.121:                              ;   in Loop: Header=BB0_99 Depth=4
	v_add_u32_e32 v46, 1, v46
; %bb.122:                              ;   in Loop: Header=BB0_99 Depth=4
	s_or_b64 exec, exec, s[52:53]
	s_mov_b64 s[52:53], exec
	v_add_u32_e32 v29, 1, v47
.LBB0_123:                              ;   in Loop: Header=BB0_99 Depth=4
	s_or_b64 exec, exec, s[2:3]
	s_orn2_b64 s[2:3], s[52:53], exec
	v_mov_b32_e32 v47, v29
.LBB0_124:                              ;   in Loop: Header=BB0_99 Depth=4
	s_or_b64 exec, exec, s[50:51]
	s_and_saveexec_b64 s[50:51], s[2:3]
	s_cbranch_execz .LBB0_98
; %bb.125:                              ;   in Loop: Header=BB0_99 Depth=4
	s_add_i32 s41, s41, 1
	s_add_i32 s4, s4, s9
	s_cmp_eq_u32 s41, s8
	s_cselect_b64 s[2:3], -1, 0
	s_orn2_b64 s[48:49], s[2:3], exec
	s_branch .LBB0_98
.LBB0_126:                              ;   in Loop: Header=BB0_96 Depth=3
	s_or_b64 exec, exec, s[46:47]
	v_cmp_lt_i32_e32 vcc, 0, v47
	s_and_saveexec_b64 s[2:3], vcc
	s_cbranch_execz .LBB0_94
; %bb.127:                              ;   in Loop: Header=BB0_96 Depth=3
	v_add_u32_e32 v28, s62, v34
	v_add_u32_e32 v44, v46, v44
	v_ashrrev_i32_e32 v29, 31, v28
	v_mov_b32_e32 v46, s7
	v_add_co_u32_e32 v28, vcc, s6, v28
	v_add_u32_e32 v45, v47, v45
	v_add_u32_e32 v43, 1, v43
	v_addc_co_u32_e32 v29, vcc, v46, v29, vcc
	global_store_byte v[28:29], v6, off
	s_branch .LBB0_94
.LBB0_128:                              ;   in Loop: Header=BB0_48 Depth=2
	v_cvt_f32_u32_e32 v28, v45
.LBB0_129:                              ;   in Loop: Header=BB0_48 Depth=2
	v_cvt_f32_i32_e32 v29, v44
	v_div_scale_f32 v31, s[2:3], v28, v28, v29
	v_div_scale_f32 v42, vcc, v29, v28, v29
	v_rcp_f32_e32 v44, v31
	v_fma_f32 v45, -v31, v44, 1.0
	v_fmac_f32_e32 v44, v45, v44
	v_mul_f32_e32 v45, v42, v44
	v_fma_f32 v46, -v31, v45, v42
	v_fmac_f32_e32 v45, v46, v44
	v_fma_f32 v31, -v31, v45, v42
	v_div_fmas_f32 v31, v31, v44, v45
	v_div_fixup_f32 v28, v31, v28, v29
	v_cmp_gt_f32_e32 vcc, s59, v28
	s_and_saveexec_b64 s[2:3], vcc
	s_cbranch_execz .LBB0_45
; %bb.130:                              ;   in Loop: Header=BB0_48 Depth=2
	v_max_i32_e32 v29, 10, v30
	v_cmp_lt_i32_e32 vcc, v29, v43
	s_and_saveexec_b64 s[40:41], vcc
	s_cbranch_execz .LBB0_44
; %bb.131:                              ;   in Loop: Header=BB0_48 Depth=2
	s_andn2_b64 vcc, exec, s[20:21]
	global_store_dword v[1:2], v28, off
	s_cbranch_vccnz .LBB0_138
; %bb.132:                              ;   in Loop: Header=BB0_48 Depth=2
	v_mov_b32_e32 v29, v18
	v_mov_b32_e32 v31, v20
	s_andn2_b64 vcc, exec, s[30:31]
	v_mov_b32_e32 v28, v17
	v_mov_b32_e32 v30, v19
	s_mov_b32 s4, s55
	s_cbranch_vccnz .LBB0_135
.LBB0_133:                              ;   Parent Loop BB0_4 Depth=1
                                        ;     Parent Loop BB0_48 Depth=2
                                        ; =>    This Inner Loop Header: Depth=3
	global_load_dword v42, v[28:29], off
	v_add_co_u32_e32 v28, vcc, 4, v28
	v_addc_co_u32_e32 v29, vcc, 0, v29, vcc
	s_add_i32 s4, s4, -4
	s_mov_b32 s44, s55
	s_mov_b64 s[42:43], s[34:35]
	s_cmp_lg_u32 s4, 0
	s_waitcnt vmcnt(0)
	global_store_dword v[30:31], v42, off
	v_add_co_u32_e32 v30, vcc, 4, v30
	v_addc_co_u32_e32 v31, vcc, 0, v31, vcc
	s_cbranch_scc1 .LBB0_133
; %bb.134:                              ;   in Loop: Header=BB0_48 Depth=2
	s_and_b64 vcc, exec, s[42:43]
	s_cbranch_vccnz .LBB0_136
	s_branch .LBB0_138
.LBB0_135:                              ;   in Loop: Header=BB0_48 Depth=2
	s_mov_b32 s44, 0
	s_cbranch_execz .LBB0_138
.LBB0_136:                              ;   in Loop: Header=BB0_48 Depth=2
	v_add_co_u32_e32 v28, vcc, s44, v17
	v_addc_co_u32_e32 v29, vcc, 0, v18, vcc
	v_add_co_u32_e32 v30, vcc, s44, v19
	s_sub_i32 s4, s8, s44
	v_addc_co_u32_e32 v31, vcc, 0, v20, vcc
.LBB0_137:                              ;   Parent Loop BB0_4 Depth=1
                                        ;     Parent Loop BB0_48 Depth=2
                                        ; =>    This Inner Loop Header: Depth=3
	global_load_ubyte v42, v[28:29], off
	v_add_co_u32_e32 v28, vcc, 1, v28
	v_addc_co_u32_e32 v29, vcc, 0, v29, vcc
	s_add_i32 s4, s4, -1
	s_cmp_eq_u32 s4, 0
	s_waitcnt vmcnt(0)
	global_store_byte v[30:31], v42, off
	v_add_co_u32_e32 v30, vcc, 1, v30
	v_addc_co_u32_e32 v31, vcc, 0, v31, vcc
	s_cbranch_scc0 .LBB0_137
.LBB0_138:                              ;   in Loop: Header=BB0_48 Depth=2
	s_and_b64 vcc, exec, s[0:1]
	s_cbranch_vccnz .LBB0_43
; %bb.139:                              ;   in Loop: Header=BB0_48 Depth=2
	v_mov_b32_e32 v29, v16
	v_mov_b32_e32 v31, v22
	s_andn2_b64 vcc, exec, s[26:27]
	v_mov_b32_e32 v28, v15
	v_mov_b32_e32 v30, v21
	s_mov_b32 s4, s54
	s_cbranch_vccnz .LBB0_142
.LBB0_140:                              ;   Parent Loop BB0_4 Depth=1
                                        ;     Parent Loop BB0_48 Depth=2
                                        ; =>    This Inner Loop Header: Depth=3
	global_load_dword v42, v[28:29], off
	v_add_co_u32_e32 v28, vcc, 4, v28
	v_addc_co_u32_e32 v29, vcc, 0, v29, vcc
	s_add_i32 s4, s4, -4
	s_mov_b32 s44, s54
	s_mov_b64 s[42:43], s[28:29]
	s_cmp_lg_u32 s4, 0
	s_waitcnt vmcnt(0)
	global_store_dword v[30:31], v42, off
	v_add_co_u32_e32 v30, vcc, 4, v30
	v_addc_co_u32_e32 v31, vcc, 0, v31, vcc
	s_cbranch_scc1 .LBB0_140
; %bb.141:                              ;   in Loop: Header=BB0_48 Depth=2
	s_and_b64 vcc, exec, s[42:43]
	s_cbranch_vccz .LBB0_43
	s_branch .LBB0_143
.LBB0_142:                              ;   in Loop: Header=BB0_48 Depth=2
	s_mov_b32 s44, 0
	s_cbranch_execz .LBB0_43
.LBB0_143:                              ;   in Loop: Header=BB0_48 Depth=2
	v_add_co_u32_e32 v28, vcc, s44, v15
	v_addc_co_u32_e32 v29, vcc, 0, v16, vcc
	v_add_co_u32_e32 v30, vcc, s44, v21
	s_sub_i32 s4, s10, s44
	v_addc_co_u32_e32 v31, vcc, 0, v22, vcc
.LBB0_144:                              ;   Parent Loop BB0_4 Depth=1
                                        ;     Parent Loop BB0_48 Depth=2
                                        ; =>    This Inner Loop Header: Depth=3
	global_load_ubyte v42, v[28:29], off
	v_add_co_u32_e32 v28, vcc, 1, v28
	v_addc_co_u32_e32 v29, vcc, 0, v29, vcc
	s_add_i32 s4, s4, -1
	s_cmp_lg_u32 s4, 0
	s_waitcnt vmcnt(0)
	global_store_byte v[30:31], v42, off
	v_add_co_u32_e32 v30, vcc, 1, v30
	v_addc_co_u32_e32 v31, vcc, 0, v31, vcc
	s_cbranch_scc1 .LBB0_144
	s_branch .LBB0_43
.LBB0_145:
	s_endpgm
	.section	.rodata,"a",@progbits
	.p2align	6, 0x0
	.amdhsa_kernel _Z17compute_biclusterPKfiiifPcS1_PfPiS3_S1_S1_
		.amdhsa_group_segment_fixed_size 2200
		.amdhsa_private_segment_fixed_size 0
		.amdhsa_kernarg_size 336
		.amdhsa_user_sgpr_count 6
		.amdhsa_user_sgpr_private_segment_buffer 1
		.amdhsa_user_sgpr_dispatch_ptr 0
		.amdhsa_user_sgpr_queue_ptr 0
		.amdhsa_user_sgpr_kernarg_segment_ptr 1
		.amdhsa_user_sgpr_dispatch_id 0
		.amdhsa_user_sgpr_flat_scratch_init 0
		.amdhsa_user_sgpr_private_segment_size 0
		.amdhsa_uses_dynamic_stack 0
		.amdhsa_system_sgpr_private_segment_wavefront_offset 0
		.amdhsa_system_sgpr_workgroup_id_x 1
		.amdhsa_system_sgpr_workgroup_id_y 0
		.amdhsa_system_sgpr_workgroup_id_z 0
		.amdhsa_system_sgpr_workgroup_info 0
		.amdhsa_system_vgpr_workitem_id 0
		.amdhsa_next_free_vgpr 62
		.amdhsa_next_free_sgpr 66
		.amdhsa_reserve_vcc 1
		.amdhsa_reserve_flat_scratch 0
		.amdhsa_float_round_mode_32 0
		.amdhsa_float_round_mode_16_64 0
		.amdhsa_float_denorm_mode_32 3
		.amdhsa_float_denorm_mode_16_64 3
		.amdhsa_dx10_clamp 1
		.amdhsa_ieee_mode 1
		.amdhsa_fp16_overflow 0
		.amdhsa_exception_fp_ieee_invalid_op 0
		.amdhsa_exception_fp_denorm_src 0
		.amdhsa_exception_fp_ieee_div_zero 0
		.amdhsa_exception_fp_ieee_overflow 0
		.amdhsa_exception_fp_ieee_underflow 0
		.amdhsa_exception_fp_ieee_inexact 0
		.amdhsa_exception_int_div_zero 0
	.end_amdhsa_kernel
	.text
.Lfunc_end0:
	.size	_Z17compute_biclusterPKfiiifPcS1_PfPiS3_S1_S1_, .Lfunc_end0-_Z17compute_biclusterPKfiiifPcS1_PfPiS3_S1_S1_
                                        ; -- End function
	.set _Z17compute_biclusterPKfiiifPcS1_PfPiS3_S1_S1_.num_vgpr, 62
	.set _Z17compute_biclusterPKfiiifPcS1_PfPiS3_S1_S1_.num_agpr, 0
	.set _Z17compute_biclusterPKfiiifPcS1_PfPiS3_S1_S1_.numbered_sgpr, 66
	.set _Z17compute_biclusterPKfiiifPcS1_PfPiS3_S1_S1_.num_named_barrier, 0
	.set _Z17compute_biclusterPKfiiifPcS1_PfPiS3_S1_S1_.private_seg_size, 0
	.set _Z17compute_biclusterPKfiiifPcS1_PfPiS3_S1_S1_.uses_vcc, 1
	.set _Z17compute_biclusterPKfiiifPcS1_PfPiS3_S1_S1_.uses_flat_scratch, 0
	.set _Z17compute_biclusterPKfiiifPcS1_PfPiS3_S1_S1_.has_dyn_sized_stack, 0
	.set _Z17compute_biclusterPKfiiifPcS1_PfPiS3_S1_S1_.has_recursion, 0
	.set _Z17compute_biclusterPKfiiifPcS1_PfPiS3_S1_S1_.has_indirect_call, 0
	.section	.AMDGPU.csdata,"",@progbits
; Kernel info:
; codeLenInByte = 5684
; TotalNumSgprs: 70
; NumVgprs: 62
; ScratchSize: 0
; MemoryBound: 0
; FloatMode: 240
; IeeeMode: 1
; LDSByteSize: 2200 bytes/workgroup (compile time only)
; SGPRBlocks: 8
; VGPRBlocks: 15
; NumSGPRsForWavesPerEU: 70
; NumVGPRsForWavesPerEU: 62
; Occupancy: 4
; WaveLimiterHint : 0
; COMPUTE_PGM_RSRC2:SCRATCH_EN: 0
; COMPUTE_PGM_RSRC2:USER_SGPR: 6
; COMPUTE_PGM_RSRC2:TRAP_HANDLER: 0
; COMPUTE_PGM_RSRC2:TGID_X_EN: 1
; COMPUTE_PGM_RSRC2:TGID_Y_EN: 0
; COMPUTE_PGM_RSRC2:TGID_Z_EN: 0
; COMPUTE_PGM_RSRC2:TIDIG_COMP_CNT: 0
	.section	.AMDGPU.gpr_maximums,"",@progbits
	.set amdgpu.max_num_vgpr, 0
	.set amdgpu.max_num_agpr, 0
	.set amdgpu.max_num_sgpr, 0
	.section	.AMDGPU.csdata,"",@progbits
	.type	__hip_cuid_59c9a1af48711e6e,@object ; @__hip_cuid_59c9a1af48711e6e
	.section	.bss,"aw",@nobits
	.globl	__hip_cuid_59c9a1af48711e6e
__hip_cuid_59c9a1af48711e6e:
	.byte	0                               ; 0x0
	.size	__hip_cuid_59c9a1af48711e6e, 1

	.ident	"AMD clang version 22.0.0git (https://github.com/RadeonOpenCompute/llvm-project roc-7.2.4 26084 f58b06dce1f9c15707c5f808fd002e18c2accf7e)"
	.section	".note.GNU-stack","",@progbits
	.addrsig
	.addrsig_sym __hip_cuid_59c9a1af48711e6e
	.amdgpu_metadata
---
amdhsa.kernels:
  - .args:
      - .actual_access:  read_only
        .address_space:  global
        .offset:         0
        .size:           8
        .value_kind:     global_buffer
      - .offset:         8
        .size:           4
        .value_kind:     by_value
      - .offset:         12
        .size:           4
        .value_kind:     by_value
      - .offset:         16
        .size:           4
        .value_kind:     by_value
      - .offset:         20
        .size:           4
        .value_kind:     by_value
      - .actual_access:  write_only
        .address_space:  global
        .offset:         24
        .size:           8
        .value_kind:     global_buffer
      - .actual_access:  write_only
        .address_space:  global
        .offset:         32
        .size:           8
        .value_kind:     global_buffer
      - .actual_access:  write_only
        .address_space:  global
        .offset:         40
        .size:           8
        .value_kind:     global_buffer
      - .actual_access:  write_only
        .address_space:  global
        .offset:         48
        .size:           8
        .value_kind:     global_buffer
      - .actual_access:  write_only
        .address_space:  global
        .offset:         56
        .size:           8
        .value_kind:     global_buffer
      - .address_space:  global
        .offset:         64
        .size:           8
        .value_kind:     global_buffer
      - .address_space:  global
        .offset:         72
        .size:           8
        .value_kind:     global_buffer
      - .offset:         80
        .size:           4
        .value_kind:     hidden_block_count_x
      - .offset:         84
        .size:           4
        .value_kind:     hidden_block_count_y
      - .offset:         88
        .size:           4
        .value_kind:     hidden_block_count_z
      - .offset:         92
        .size:           2
        .value_kind:     hidden_group_size_x
      - .offset:         94
        .size:           2
        .value_kind:     hidden_group_size_y
      - .offset:         96
        .size:           2
        .value_kind:     hidden_group_size_z
      - .offset:         98
        .size:           2
        .value_kind:     hidden_remainder_x
      - .offset:         100
        .size:           2
        .value_kind:     hidden_remainder_y
      - .offset:         102
        .size:           2
        .value_kind:     hidden_remainder_z
      - .offset:         120
        .size:           8
        .value_kind:     hidden_global_offset_x
      - .offset:         128
        .size:           8
        .value_kind:     hidden_global_offset_y
      - .offset:         136
        .size:           8
        .value_kind:     hidden_global_offset_z
      - .offset:         144
        .size:           2
        .value_kind:     hidden_grid_dims
    .group_segment_fixed_size: 2200
    .kernarg_segment_align: 8
    .kernarg_segment_size: 336
    .language:       OpenCL C
    .language_version:
      - 2
      - 0
    .max_flat_workgroup_size: 1024
    .name:           _Z17compute_biclusterPKfiiifPcS1_PfPiS3_S1_S1_
    .private_segment_fixed_size: 0
    .sgpr_count:     70
    .sgpr_spill_count: 0
    .symbol:         _Z17compute_biclusterPKfiiifPcS1_PfPiS3_S1_S1_.kd
    .uniform_work_group_size: 1
    .uses_dynamic_stack: false
    .vgpr_count:     62
    .vgpr_spill_count: 0
    .wavefront_size: 64
amdhsa.target:   amdgcn-amd-amdhsa--gfx906
amdhsa.version:
  - 1
  - 2
...

	.end_amdgpu_metadata
